;; amdgpu-corpus repo=FlagOpen/FlagGems kind=triton arch=gfx950 opt=O3 lang=triton
	.amdgcn_target "amdgcn-amd-amdhsa--gfx950"
	.amdhsa_code_object_version 5
	.text
	.globl	softmax_kernel_non_inner        ; -- Begin function softmax_kernel_non_inner
	.p2align	8
	.type	softmax_kernel_non_inner,@function
softmax_kernel_non_inner:               ; @softmax_kernel_non_inner
.Lfunc_begin0:
	.cfi_sections .debug_frame
	.cfi_startproc
; %bb.141:
	.file	1 "/root/src/amdgpu-assembly/repos/FlagOpen__FlagGems/triton_aot_kernels" "softmax_aot.py"
	.loc	1 13 0 prologue_end             ; softmax_aot.py:13:0
	s_load_dwordx2 s[2:3], s[0:1], 0x0
	s_load_dwordx8 s[4:11], s[0:1], 0x8
	s_load_dwordx2 s[12:13], s[0:1], 0x28
	s_waitcnt lgkmcnt(0)
	s_branch .LBB0_0
	.loc	1 0 0 is_stmt 0                 ; :0:0
.Ltmp0:
	.p2align	8
; %bb.142:
.LBB0_0:
.Ltmp1:
	.file	2 "/root/.local/lib/python3.13/site-packages/triton/language" "standard.py"
	.loc	2 293 36 is_stmt 1              ; standard.py:293:36 @[ softmax_aot.py:36:22 ]
	v_readfirstlane_b32 s6, v0
.Ltmp2:
	.loc	1 26 46                         ; softmax_aot.py:26:46
	s_and_b32 s0, s6, 0xc0
	.loc	1 30 43                         ; softmax_aot.py:30:43
	v_and_b32_e32 v70, 32, v0
	v_or_b32_e32 v1, s0, v70
	.loc	1 26 46                         ; softmax_aot.py:26:46
	v_and_b32_e32 v67, 31, v0
	.loc	1 30 25                         ; softmax_aot.py:30:25
	s_mul_i32 s9, s7, s14
	.loc	1 30 43 is_stmt 0               ; softmax_aot.py:30:43
	v_lshrrev_b32_e32 v3, 5, v1
	.loc	1 26 33 is_stmt 1               ; softmax_aot.py:26:33
	v_lshl_or_b32 v2, s15, 5, v67
	.loc	1 30 33                         ; softmax_aot.py:30:33
	v_add_u32_e32 v1, s9, v3
	.loc	1 30 58 is_stmt 0               ; softmax_aot.py:30:58
	v_mad_u64_u32 v[64:65], s[0:1], v1, s8, v[2:3]
	.loc	1 31 37 is_stmt 1               ; softmax_aot.py:31:37
	v_cmp_gt_i32_e64 s[0:1], s7, v3
	.loc	1 31 55 is_stmt 0               ; softmax_aot.py:31:55
	v_cmp_gt_i32_e32 vcc, s8, v2
	.loc	1 33 22 is_stmt 1               ; softmax_aot.py:33:22
	v_mov_b32_e32 v1, 0xff800000
	.loc	1 31 43                         ; softmax_aot.py:31:43
	s_and_b64 s[72:73], vcc, s[0:1]
	v_ashrrev_i32_e32 v65, 31, v64
	v_mov_b32_e32 v66, v1
	.loc	1 33 22                         ; softmax_aot.py:33:22
	s_and_saveexec_b64 s[0:1], s[72:73]
	s_cbranch_execz .LBB0_2
; %bb.1:
	.loc	1 0 22 is_stmt 0                ; softmax_aot.py:0:22
	v_lshl_add_u64 v[4:5], v[64:65], 2, s[4:5]
	.loc	1 33 22                         ; softmax_aot.py:33:22
	global_load_dword v66, v[4:5], off
.LBB0_2:
	.loc	1 0 22                          ; softmax_aot.py:0:22
	s_or_b64 exec, exec, s[0:1]
	.loc	1 30 43 is_stmt 1               ; softmax_aot.py:30:43
	v_or_b32_e32 v4, 8, v3
	.loc	1 30 33 is_stmt 0               ; softmax_aot.py:30:33
	v_add_u32_e32 v5, s9, v4
	.loc	1 30 58                         ; softmax_aot.py:30:58
	v_mad_u64_u32 v[62:63], s[0:1], v5, s8, v[2:3]
	.loc	1 31 37 is_stmt 1               ; softmax_aot.py:31:37
	v_cmp_gt_i32_e64 s[0:1], s7, v4
	.loc	1 31 43 is_stmt 0               ; softmax_aot.py:31:43
	s_and_b64 s[70:71], vcc, s[0:1]
	.loc	1 32 33 is_stmt 1               ; softmax_aot.py:32:33
	v_ashrrev_i32_e32 v63, 31, v62
	.loc	1 33 22                         ; softmax_aot.py:33:22
	s_and_saveexec_b64 s[0:1], s[70:71]
	s_cbranch_execz .LBB0_4
; %bb.3:
	.loc	1 32 33                         ; softmax_aot.py:32:33
	v_lshl_add_u64 v[4:5], v[62:63], 2, s[4:5]
	.loc	1 33 22                         ; softmax_aot.py:33:22
	global_load_dword v1, v[4:5], off
.LBB0_4:
	.loc	1 0 22 is_stmt 0                ; softmax_aot.py:0:22
	s_or_b64 exec, exec, s[0:1]
	.loc	1 30 43 is_stmt 1               ; softmax_aot.py:30:43
	v_or_b32_e32 v4, 16, v3
	.loc	1 30 33 is_stmt 0               ; softmax_aot.py:30:33
	v_add_u32_e32 v5, s9, v4
	.loc	1 30 58                         ; softmax_aot.py:30:58
	v_mad_u64_u32 v[60:61], s[0:1], v5, s8, v[2:3]
	.loc	1 31 37 is_stmt 1               ; softmax_aot.py:31:37
	v_cmp_gt_i32_e64 s[0:1], s7, v4
	.loc	1 33 22                         ; softmax_aot.py:33:22
	v_mov_b32_e32 v68, 0xff800000
	.loc	1 31 43                         ; softmax_aot.py:31:43
	s_and_b64 s[68:69], vcc, s[0:1]
	.loc	1 32 33                         ; softmax_aot.py:32:33
	v_ashrrev_i32_e32 v61, 31, v60
	v_mov_b32_e32 v69, v68
	.loc	1 33 22                         ; softmax_aot.py:33:22
	s_and_saveexec_b64 s[0:1], s[68:69]
	s_cbranch_execz .LBB0_6
; %bb.5:
	.loc	1 32 33                         ; softmax_aot.py:32:33
	v_lshl_add_u64 v[4:5], v[60:61], 2, s[4:5]
	.loc	1 33 22                         ; softmax_aot.py:33:22
	global_load_dword v69, v[4:5], off
.LBB0_6:
	.loc	1 0 22 is_stmt 0                ; softmax_aot.py:0:22
	s_or_b64 exec, exec, s[0:1]
	.loc	1 30 43 is_stmt 1               ; softmax_aot.py:30:43
	v_or_b32_e32 v4, 24, v3
	.loc	1 30 33 is_stmt 0               ; softmax_aot.py:30:33
	v_add_u32_e32 v5, s9, v4
	.loc	1 30 58                         ; softmax_aot.py:30:58
	v_mad_u64_u32 v[58:59], s[0:1], v5, s8, v[2:3]
	.loc	1 31 37 is_stmt 1               ; softmax_aot.py:31:37
	v_cmp_gt_i32_e64 s[0:1], s7, v4
	.loc	1 31 43 is_stmt 0               ; softmax_aot.py:31:43
	s_and_b64 s[66:67], vcc, s[0:1]
	.loc	1 32 33 is_stmt 1               ; softmax_aot.py:32:33
	v_ashrrev_i32_e32 v59, 31, v58
	.loc	1 33 22                         ; softmax_aot.py:33:22
	s_and_saveexec_b64 s[0:1], s[66:67]
	s_cbranch_execz .LBB0_8
; %bb.7:
	.loc	1 32 33                         ; softmax_aot.py:32:33
	v_lshl_add_u64 v[4:5], v[58:59], 2, s[4:5]
	.loc	1 33 22                         ; softmax_aot.py:33:22
	global_load_dword v68, v[4:5], off
.LBB0_8:
	.loc	1 0 22 is_stmt 0                ; softmax_aot.py:0:22
	s_or_b64 exec, exec, s[0:1]
	.loc	1 30 43 is_stmt 1               ; softmax_aot.py:30:43
	v_or_b32_e32 v4, 32, v3
	.loc	1 30 33 is_stmt 0               ; softmax_aot.py:30:33
	v_add_u32_e32 v5, s9, v4
	.loc	1 30 58                         ; softmax_aot.py:30:58
	v_mad_u64_u32 v[56:57], s[0:1], v5, s8, v[2:3]
	.loc	1 31 37 is_stmt 1               ; softmax_aot.py:31:37
	v_cmp_gt_i32_e64 s[0:1], s7, v4
	.loc	1 33 22                         ; softmax_aot.py:33:22
	v_mov_b32_e32 v71, 0xff800000
	.loc	1 31 43                         ; softmax_aot.py:31:43
	s_and_b64 s[64:65], vcc, s[0:1]
	.loc	1 32 33                         ; softmax_aot.py:32:33
	v_ashrrev_i32_e32 v57, 31, v56
	v_mov_b32_e32 v72, v71
	.loc	1 33 22                         ; softmax_aot.py:33:22
	s_and_saveexec_b64 s[0:1], s[64:65]
	s_cbranch_execz .LBB0_10
; %bb.9:
	.loc	1 32 33                         ; softmax_aot.py:32:33
	v_lshl_add_u64 v[4:5], v[56:57], 2, s[4:5]
	.loc	1 33 22                         ; softmax_aot.py:33:22
	global_load_dword v72, v[4:5], off
.LBB0_10:
	.loc	1 0 22 is_stmt 0                ; softmax_aot.py:0:22
	;; [unrolled: 49-line block ×15, first 2 shown]
	s_or_b64 exec, exec, s[0:1]
	.loc	1 30 43 is_stmt 1               ; softmax_aot.py:30:43
	v_or_b32_e32 v92, 0xf8, v3
	.loc	1 30 33 is_stmt 0               ; softmax_aot.py:30:33
	v_add_u32_e32 v3, s9, v92
	.loc	1 30 58                         ; softmax_aot.py:30:58
	v_mad_u64_u32 v[2:3], s[0:1], v3, s8, v[2:3]
	.loc	1 31 37 is_stmt 1               ; softmax_aot.py:31:37
	v_cmp_gt_i32_e64 s[0:1], s7, v92
	.loc	1 31 43 is_stmt 0               ; softmax_aot.py:31:43
	s_and_b64 s[8:9], vcc, s[0:1]
	.loc	1 32 33 is_stmt 1               ; softmax_aot.py:32:33
	v_ashrrev_i32_e32 v3, 31, v2
	.loc	1 33 22                         ; softmax_aot.py:33:22
	s_and_saveexec_b64 s[0:1], s[8:9]
	s_cbranch_execz .LBB0_64
; %bb.63:
	.loc	1 32 33                         ; softmax_aot.py:32:33
	v_lshl_add_u64 v[102:103], v[2:3], 2, s[4:5]
	.loc	1 33 22                         ; softmax_aot.py:33:22
	global_load_dword v100, v[102:103], off
.LBB0_64:
	.loc	1 0 22 is_stmt 0                ; softmax_aot.py:0:22
	s_or_b64 exec, exec, s[0:1]
.Ltmp3:
	.loc	2 170 27 is_stmt 1              ; standard.py:170:27 @[ standard.py:191:40 @[ softmax_aot.py:34:24 ] ]
	s_waitcnt vmcnt(0)
	v_max_f32_e32 v92, v1, v1
	v_max_f32_e32 v94, v66, v66
	;; [unrolled: 1-line block ×3, first 2 shown]
	v_max3_f32 v92, v92, v69, v68
	v_max3_f32 v92, v92, v72, v71
	;; [unrolled: 1-line block ×15, first 2 shown]
.Ltmp4:
	.loc	2 191 40                        ; standard.py:191:40 @[ softmax_aot.py:34:24 ]
	s_lshr_b32 s0, s6, 4
	v_mov_b32_e32 v102, v94
	v_lshl_add_u32 v92, v67, 4, 0
	s_and_b32 s0, s0, 12
	v_permlane32_swap_b32_e32 v94, v102
	v_cmp_eq_u32_e32 vcc, 0, v70
	v_add_u32_e32 v96, s0, v92
	s_and_saveexec_b64 s[0:1], vcc
; %bb.65:
	.loc	2 0 40 is_stmt 0                ; standard.py:0:40
	v_max_f32_e32 v67, v94, v94
	v_max_f32_e32 v70, v102, v102
	;; [unrolled: 1-line block ×3, first 2 shown]
	.loc	2 191 40                        ; standard.py:191:40 @[ softmax_aot.py:34:24 ]
	ds_write_b32 v96, v67
; %bb.66:
	.loc	2 0 40                          ; standard.py:0:40
	s_or_b64 exec, exec, s[0:1]
	s_movk_i32 s0, 0x80
	.loc	2 191 40                        ; standard.py:191:40 @[ softmax_aot.py:34:24 ]
	v_cmp_gt_u32_e64 s[0:1], s0, v0
	v_lshl_add_u32 v94, v0, 2, 0
.Ltmp5:
	.loc	1 34 24 is_stmt 1               ; softmax_aot.py:34:24
	v_mov_b32_e32 v67, 0
.Ltmp6:
	.loc	2 191 40                        ; standard.py:191:40 @[ softmax_aot.py:34:24 ]
	s_waitcnt lgkmcnt(0)
	s_barrier
	s_and_saveexec_b64 s[4:5], s[0:1]
; %bb.67:
	ds_read_b32 v67, v94
; %bb.68:
	.loc	2 0 40 is_stmt 0                ; standard.py:0:40
	s_or_b64 exec, exec, s[4:5]
.Ltmp7:
	.loc	2 170 27 is_stmt 1              ; standard.py:170:27 @[ standard.py:191:40 @[ softmax_aot.py:34:24 ] ]
	s_waitcnt lgkmcnt(0)
	v_max_f32_e32 v70, v67, v67
.Ltmp8:
	.loc	2 191 40                        ; standard.py:191:40 @[ softmax_aot.py:34:24 ]
	v_mov_b32_dpp v67, v67 quad_perm:[2,3,0,1] row_mask:0xf bank_mask:0xf
.Ltmp9:
	.loc	2 170 27                        ; standard.py:170:27 @[ standard.py:191:40 @[ softmax_aot.py:34:24 ] ]
	v_max_f32_e32 v67, v67, v67
	v_max_f32_e32 v67, v70, v67
.Ltmp10:
	.loc	2 191 40                        ; standard.py:191:40 @[ softmax_aot.py:34:24 ]
	v_and_b32_e32 v0, 3, v0
	v_mov_b32_e32 v70, v67
	v_cmp_eq_u32_e64 s[4:5], 0, v0
	s_and_b64 s[74:75], s[0:1], s[4:5]
	v_mov_b32_dpp v70, v70 quad_perm:[1,0,3,2] row_mask:0xf bank_mask:0xf
	s_and_saveexec_b64 s[4:5], s[74:75]
; %bb.69:
	.loc	2 0 40 is_stmt 0                ; standard.py:0:40
	v_max_f32_e32 v0, v70, v70
	v_max_f32_e32 v67, v67, v67
	v_max_f32_e32 v0, v67, v0
	.loc	2 191 40                        ; standard.py:191:40 @[ softmax_aot.py:34:24 ]
	ds_write_b32 v94, v0
; %bb.70:
	.loc	2 0 40                          ; standard.py:0:40
	s_or_b64 exec, exec, s[4:5]
	.loc	2 191 40                        ; standard.py:191:40 @[ softmax_aot.py:34:24 ]
	s_waitcnt lgkmcnt(0)
	s_barrier
	ds_read_b32 v0, v92
	s_mov_b32 s33, 0xc2fc0000
.Ltmp11:
	.loc	1 35 19 is_stmt 1               ; softmax_aot.py:35:19
	v_not_b32_e32 v116, 63
.Ltmp12:
	.loc	2 293 36                        ; standard.py:293:36 @[ softmax_aot.py:36:22 ]
	s_waitcnt lgkmcnt(0)
	s_barrier
.Ltmp13:
	.loc	1 35 25                         ; softmax_aot.py:35:25
	v_sub_f32_e32 v66, v66, v0
	v_sub_f32_e32 v67, v69, v0
	;; [unrolled: 1-line block ×8, first 2 shown]
	.loc	1 35 19 is_stmt 0               ; softmax_aot.py:35:19
	v_mul_f32_e32 v81, 0x3fb8aa3b, v66
	.loc	1 35 25                         ; softmax_aot.py:35:25
	v_sub_f32_e32 v1, v1, v0
	v_sub_f32_e32 v68, v68, v0
	;; [unrolled: 1-line block ×24, first 2 shown]
	.loc	1 35 19                         ; softmax_aot.py:35:19
	v_mov_b32_e32 v100, 0x42800000
	v_cmp_gt_f32_e64 s[4:5], s33, v81
	s_nop 1
	v_cndmask_b32_e64 v81, 0, v100, s[4:5]
	v_fmac_f32_e32 v81, 0x3fb8aa3b, v66
	v_exp_f32_e32 v66, v81
	v_mul_f32_e32 v81, 0x3fb8aa3b, v1
	v_cmp_gt_f32_e64 s[6:7], s33, v81
	s_nop 1
	v_cndmask_b32_e64 v81, 0, v100, s[6:7]
	v_fmac_f32_e32 v81, 0x3fb8aa3b, v1
	v_exp_f32_e32 v1, v81
	v_cndmask_b32_e64 v81, 0, v116, s[4:5]
	v_ldexp_f32 v99, v66, v81
	v_cndmask_b32_e64 v66, 0, v116, s[6:7]
	v_ldexp_f32 v98, v1, v66
	v_mul_f32_e32 v1, 0x3fb8aa3b, v67
	v_cmp_gt_f32_e64 s[4:5], s33, v1
	v_mul_f32_e32 v66, 0x3fb8aa3b, v68
	v_cmp_gt_f32_e64 s[6:7], s33, v66
	v_cndmask_b32_e64 v1, 0, v100, s[4:5]
	v_fmac_f32_e32 v1, 0x3fb8aa3b, v67
	v_cndmask_b32_e64 v66, 0, v100, s[6:7]
	v_exp_f32_e32 v1, v1
	v_fmac_f32_e32 v66, 0x3fb8aa3b, v68
	v_exp_f32_e32 v66, v66
	v_cndmask_b32_e64 v67, 0, v116, s[4:5]
	v_ldexp_f32 v97, v1, v67
	v_cndmask_b32_e64 v1, 0, v116, s[6:7]
	v_ldexp_f32 v95, v66, v1
	v_mul_f32_e32 v1, 0x3fb8aa3b, v69
	v_cmp_gt_f32_e64 s[4:5], s33, v1
	v_mul_f32_e32 v66, 0x3fb8aa3b, v70
	v_cmp_gt_f32_e64 s[6:7], s33, v66
	v_cndmask_b32_e64 v1, 0, v100, s[4:5]
	v_fmac_f32_e32 v1, 0x3fb8aa3b, v69
	v_cndmask_b32_e64 v66, 0, v100, s[6:7]
	v_exp_f32_e32 v1, v1
	;; [unrolled: 14-line block ×15, first 2 shown]
	v_fmac_f32_e32 v69, 0x3fb8aa3b, v0
	v_exp_f32_e32 v0, v69
	v_cndmask_b32_e64 v69, 0, v116, s[4:5]
	v_ldexp_f32 v1, v1, v69
	v_cndmask_b32_e64 v69, 0, v116, s[6:7]
	v_ldexp_f32 v0, v0, v69
.Ltmp14:
	.loc	2 263 15 is_stmt 1              ; standard.py:263:15 @[ standard.py:293:36 @[ softmax_aot.py:36:22 ] ]
	v_add_f32_e32 v69, v99, v98
	v_add_f32_e32 v69, v97, v69
	;; [unrolled: 1-line block ×31, first 2 shown]
.Ltmp15:
	.loc	2 293 36                        ; standard.py:293:36 @[ softmax_aot.py:36:22 ]
	v_mov_b32_e32 v100, v69
	s_nop 1
	v_permlane32_swap_b32_e32 v69, v100
	s_and_saveexec_b64 s[4:5], vcc
; %bb.71:
	.loc	2 0 36 is_stmt 0                ; standard.py:0:36
	v_add_f32_e32 v69, v69, v100
	.loc	2 293 36                        ; standard.py:293:36 @[ softmax_aot.py:36:22 ]
	ds_write_b32 v96, v69
.Ltmp16:
; %bb.72:
	.loc	2 0 36                          ; standard.py:0:36
	s_or_b64 exec, exec, s[4:5]
	.loc	1 36 22 is_stmt 1               ; softmax_aot.py:36:22
	v_mov_b32_e32 v69, 0
.Ltmp17:
	.loc	2 293 36                        ; standard.py:293:36 @[ softmax_aot.py:36:22 ]
	s_waitcnt lgkmcnt(0)
	s_barrier
	s_and_saveexec_b64 s[4:5], s[0:1]
; %bb.73:
	ds_read_b32 v69, v94
; %bb.74:
	.loc	2 0 36 is_stmt 0                ; standard.py:0:36
	s_or_b64 exec, exec, s[4:5]
	.loc	2 293 36                        ; standard.py:293:36 @[ softmax_aot.py:36:22 ]
	s_waitcnt lgkmcnt(0)
	v_mov_b32_e32 v96, v69
	s_nop 1
	v_mov_b32_dpp v96, v96 quad_perm:[2,3,0,1] row_mask:0xf bank_mask:0xf
.Ltmp18:
	.loc	2 263 15 is_stmt 1              ; standard.py:263:15 @[ standard.py:293:36 @[ softmax_aot.py:36:22 ] ]
	v_add_f32_e32 v69, v69, v96
.Ltmp19:
	.loc	2 293 36                        ; standard.py:293:36 @[ softmax_aot.py:36:22 ]
	v_mov_b32_e32 v96, v69
	s_nop 1
	v_mov_b32_dpp v96, v96 quad_perm:[1,0,3,2] row_mask:0xf bank_mask:0xf
	s_and_saveexec_b64 s[0:1], s[74:75]
; %bb.75:
	.loc	2 0 36 is_stmt 0                ; standard.py:0:36
	v_add_f32_e32 v69, v69, v96
	.loc	2 293 36                        ; standard.py:293:36 @[ softmax_aot.py:36:22 ]
	ds_write_b32 v94, v69
; %bb.76:
	.loc	2 0 36                          ; standard.py:0:36
	s_or_b64 exec, exec, s[0:1]
	.loc	2 293 36                        ; standard.py:293:36 @[ softmax_aot.py:36:22 ]
	s_waitcnt lgkmcnt(0)
	s_barrier
	ds_read_b32 v69, v92
.Ltmp20:
	.loc	1 39 30 is_stmt 1               ; softmax_aot.py:39:30
	s_and_saveexec_b64 s[0:1], s[72:73]
	s_cbranch_execnz .LBB0_109
; %bb.77:
	.loc	1 0 30 is_stmt 0                ; softmax_aot.py:0:30
	s_or_b64 exec, exec, s[0:1]
	.loc	1 39 30                         ; softmax_aot.py:39:30
	s_and_saveexec_b64 s[0:1], s[70:71]
	s_cbranch_execnz .LBB0_110
.LBB0_78:
	.loc	1 0 30                          ; softmax_aot.py:0:30
	s_or_b64 exec, exec, s[0:1]
	.loc	1 39 30                         ; softmax_aot.py:39:30
	s_and_saveexec_b64 s[0:1], s[68:69]
	s_cbranch_execnz .LBB0_111
.LBB0_79:
	.loc	1 0 30                          ; softmax_aot.py:0:30
	s_or_b64 exec, exec, s[0:1]
	.loc	1 39 30                         ; softmax_aot.py:39:30
	s_and_saveexec_b64 s[0:1], s[66:67]
	s_cbranch_execnz .LBB0_112
.LBB0_80:
	.loc	1 0 30                          ; softmax_aot.py:0:30
	s_or_b64 exec, exec, s[0:1]
	.loc	1 39 30                         ; softmax_aot.py:39:30
	s_and_saveexec_b64 s[0:1], s[64:65]
	s_cbranch_execnz .LBB0_113
.LBB0_81:
	.loc	1 0 30                          ; softmax_aot.py:0:30
	s_or_b64 exec, exec, s[0:1]
	.loc	1 39 30                         ; softmax_aot.py:39:30
	s_and_saveexec_b64 s[0:1], s[62:63]
	s_cbranch_execnz .LBB0_114
.LBB0_82:
	.loc	1 0 30                          ; softmax_aot.py:0:30
	s_or_b64 exec, exec, s[0:1]
	.loc	1 39 30                         ; softmax_aot.py:39:30
	s_and_saveexec_b64 s[0:1], s[60:61]
	s_cbranch_execnz .LBB0_115
.LBB0_83:
	.loc	1 0 30                          ; softmax_aot.py:0:30
	s_or_b64 exec, exec, s[0:1]
	.loc	1 39 30                         ; softmax_aot.py:39:30
	s_and_saveexec_b64 s[0:1], s[58:59]
	s_cbranch_execnz .LBB0_116
.LBB0_84:
	.loc	1 0 30                          ; softmax_aot.py:0:30
	s_or_b64 exec, exec, s[0:1]
	.loc	1 39 30                         ; softmax_aot.py:39:30
	s_and_saveexec_b64 s[0:1], s[56:57]
	s_cbranch_execnz .LBB0_117
.LBB0_85:
	.loc	1 0 30                          ; softmax_aot.py:0:30
	s_or_b64 exec, exec, s[0:1]
	.loc	1 39 30                         ; softmax_aot.py:39:30
	s_and_saveexec_b64 s[0:1], s[54:55]
	s_cbranch_execnz .LBB0_118
.LBB0_86:
	.loc	1 0 30                          ; softmax_aot.py:0:30
	s_or_b64 exec, exec, s[0:1]
	.loc	1 39 30                         ; softmax_aot.py:39:30
	s_and_saveexec_b64 s[0:1], s[52:53]
	s_cbranch_execnz .LBB0_119
.LBB0_87:
	.loc	1 0 30                          ; softmax_aot.py:0:30
	s_or_b64 exec, exec, s[0:1]
	.loc	1 39 30                         ; softmax_aot.py:39:30
	s_and_saveexec_b64 s[0:1], s[50:51]
	s_cbranch_execnz .LBB0_120
.LBB0_88:
	.loc	1 0 30                          ; softmax_aot.py:0:30
	s_or_b64 exec, exec, s[0:1]
	.loc	1 39 30                         ; softmax_aot.py:39:30
	s_and_saveexec_b64 s[0:1], s[48:49]
	s_cbranch_execnz .LBB0_121
.LBB0_89:
	.loc	1 0 30                          ; softmax_aot.py:0:30
	s_or_b64 exec, exec, s[0:1]
	.loc	1 39 30                         ; softmax_aot.py:39:30
	s_and_saveexec_b64 s[0:1], s[46:47]
	s_cbranch_execnz .LBB0_122
.LBB0_90:
	.loc	1 0 30                          ; softmax_aot.py:0:30
	s_or_b64 exec, exec, s[0:1]
	.loc	1 39 30                         ; softmax_aot.py:39:30
	s_and_saveexec_b64 s[0:1], s[44:45]
	s_cbranch_execnz .LBB0_123
.LBB0_91:
	.loc	1 0 30                          ; softmax_aot.py:0:30
	s_or_b64 exec, exec, s[0:1]
	.loc	1 39 30                         ; softmax_aot.py:39:30
	s_and_saveexec_b64 s[0:1], s[42:43]
	s_cbranch_execnz .LBB0_124
.LBB0_92:
	.loc	1 0 30                          ; softmax_aot.py:0:30
	s_or_b64 exec, exec, s[0:1]
	.loc	1 39 30                         ; softmax_aot.py:39:30
	s_and_saveexec_b64 s[0:1], s[40:41]
	s_cbranch_execnz .LBB0_125
.LBB0_93:
	.loc	1 0 30                          ; softmax_aot.py:0:30
	s_or_b64 exec, exec, s[0:1]
	.loc	1 39 30                         ; softmax_aot.py:39:30
	s_and_saveexec_b64 s[0:1], s[38:39]
	s_cbranch_execnz .LBB0_126
.LBB0_94:
	.loc	1 0 30                          ; softmax_aot.py:0:30
	s_or_b64 exec, exec, s[0:1]
	.loc	1 39 30                         ; softmax_aot.py:39:30
	s_and_saveexec_b64 s[0:1], s[36:37]
	s_cbranch_execnz .LBB0_127
.LBB0_95:
	.loc	1 0 30                          ; softmax_aot.py:0:30
	s_or_b64 exec, exec, s[0:1]
	.loc	1 39 30                         ; softmax_aot.py:39:30
	s_and_saveexec_b64 s[0:1], s[34:35]
	s_cbranch_execnz .LBB0_128
.LBB0_96:
	.loc	1 0 30                          ; softmax_aot.py:0:30
	s_or_b64 exec, exec, s[0:1]
	.loc	1 39 30                         ; softmax_aot.py:39:30
	s_and_saveexec_b64 s[0:1], s[30:31]
	s_cbranch_execnz .LBB0_129
.LBB0_97:
	.loc	1 0 30                          ; softmax_aot.py:0:30
	s_or_b64 exec, exec, s[0:1]
	.loc	1 39 30                         ; softmax_aot.py:39:30
	s_and_saveexec_b64 s[0:1], s[28:29]
	s_cbranch_execnz .LBB0_130
.LBB0_98:
	.loc	1 0 30                          ; softmax_aot.py:0:30
	s_or_b64 exec, exec, s[0:1]
	.loc	1 39 30                         ; softmax_aot.py:39:30
	s_and_saveexec_b64 s[0:1], s[26:27]
	s_cbranch_execnz .LBB0_131
.LBB0_99:
	.loc	1 0 30                          ; softmax_aot.py:0:30
	s_or_b64 exec, exec, s[0:1]
	.loc	1 39 30                         ; softmax_aot.py:39:30
	s_and_saveexec_b64 s[0:1], s[24:25]
	s_cbranch_execnz .LBB0_132
.LBB0_100:
	.loc	1 0 30                          ; softmax_aot.py:0:30
	s_or_b64 exec, exec, s[0:1]
	.loc	1 39 30                         ; softmax_aot.py:39:30
	s_and_saveexec_b64 s[0:1], s[22:23]
	s_cbranch_execnz .LBB0_133
.LBB0_101:
	.loc	1 0 30                          ; softmax_aot.py:0:30
	s_or_b64 exec, exec, s[0:1]
	.loc	1 39 30                         ; softmax_aot.py:39:30
	s_and_saveexec_b64 s[0:1], s[20:21]
	s_cbranch_execnz .LBB0_134
.LBB0_102:
	.loc	1 0 30                          ; softmax_aot.py:0:30
	s_or_b64 exec, exec, s[0:1]
	.loc	1 39 30                         ; softmax_aot.py:39:30
	s_and_saveexec_b64 s[0:1], s[18:19]
	s_cbranch_execnz .LBB0_135
.LBB0_103:
	.loc	1 0 30                          ; softmax_aot.py:0:30
	s_or_b64 exec, exec, s[0:1]
	.loc	1 39 30                         ; softmax_aot.py:39:30
	s_and_saveexec_b64 s[0:1], s[16:17]
	s_cbranch_execnz .LBB0_136
.LBB0_104:
	.loc	1 0 30                          ; softmax_aot.py:0:30
	s_or_b64 exec, exec, s[0:1]
	.loc	1 39 30                         ; softmax_aot.py:39:30
	s_and_saveexec_b64 s[0:1], s[14:15]
	s_cbranch_execnz .LBB0_137
.LBB0_105:
	.loc	1 0 30                          ; softmax_aot.py:0:30
	s_or_b64 exec, exec, s[0:1]
	.loc	1 39 30                         ; softmax_aot.py:39:30
	s_and_saveexec_b64 s[0:1], s[12:13]
	s_cbranch_execnz .LBB0_138
.LBB0_106:
	.loc	1 0 30                          ; softmax_aot.py:0:30
	s_or_b64 exec, exec, s[0:1]
	.loc	1 39 30                         ; softmax_aot.py:39:30
	s_and_saveexec_b64 s[0:1], s[10:11]
	s_cbranch_execnz .LBB0_139
.LBB0_107:
	.loc	1 0 30                          ; softmax_aot.py:0:30
	s_or_b64 exec, exec, s[0:1]
	.loc	1 39 30                         ; softmax_aot.py:39:30
	s_and_saveexec_b64 s[0:1], s[8:9]
	s_cbranch_execnz .LBB0_140
.LBB0_108:
	.loc	1 28 4 is_stmt 1                ; softmax_aot.py:28:4
	s_endpgm
.LBB0_109:
	.loc	1 37 18                         ; softmax_aot.py:37:18
	s_waitcnt lgkmcnt(0)
	v_div_scale_f32 v92, s[4:5], v69, v69, v99
	v_rcp_f32_e32 v94, v92
	v_div_scale_f32 v96, vcc, v99, v69, v99
	.loc	1 38 35                         ; softmax_aot.py:38:35
	v_lshl_add_u64 v[64:65], v[64:65], 2, s[2:3]
	.loc	1 37 18                         ; softmax_aot.py:37:18
	v_fma_f32 v100, -v92, v94, 1.0
	v_fmac_f32_e32 v94, v100, v94
	v_mul_f32_e32 v100, v96, v94
	v_fma_f32 v101, -v92, v100, v96
	v_fmac_f32_e32 v100, v101, v94
	v_fma_f32 v92, -v92, v100, v96
	v_div_fmas_f32 v92, v92, v94, v100
	v_div_fixup_f32 v92, v92, v69, v99
	.loc	1 39 30                         ; softmax_aot.py:39:30
	global_store_dword v[64:65], v92, off
	s_or_b64 exec, exec, s[0:1]
	s_and_saveexec_b64 s[0:1], s[70:71]
	s_cbranch_execz .LBB0_78
.LBB0_110:
	.loc	1 37 18                         ; softmax_aot.py:37:18
	s_waitcnt lgkmcnt(0)
	v_div_scale_f32 v64, s[4:5], v69, v69, v98
	v_rcp_f32_e32 v65, v64
	v_div_scale_f32 v92, vcc, v98, v69, v98
	.loc	1 38 35                         ; softmax_aot.py:38:35
	v_lshl_add_u64 v[62:63], v[62:63], 2, s[2:3]
	.loc	1 37 18                         ; softmax_aot.py:37:18
	v_fma_f32 v94, -v64, v65, 1.0
	v_fmac_f32_e32 v65, v94, v65
	v_mul_f32_e32 v94, v92, v65
	v_fma_f32 v96, -v64, v94, v92
	v_fmac_f32_e32 v94, v96, v65
	v_fma_f32 v64, -v64, v94, v92
	v_div_fmas_f32 v64, v64, v65, v94
	v_div_fixup_f32 v64, v64, v69, v98
	.loc	1 39 30                         ; softmax_aot.py:39:30
	global_store_dword v[62:63], v64, off
	s_or_b64 exec, exec, s[0:1]
	s_and_saveexec_b64 s[0:1], s[68:69]
	s_cbranch_execz .LBB0_79
.LBB0_111:
	.loc	1 37 18                         ; softmax_aot.py:37:18
	s_waitcnt lgkmcnt(0)
	v_div_scale_f32 v62, s[4:5], v69, v69, v97
	v_rcp_f32_e32 v63, v62
	v_div_scale_f32 v64, vcc, v97, v69, v97
	.loc	1 38 35                         ; softmax_aot.py:38:35
	v_lshl_add_u64 v[60:61], v[60:61], 2, s[2:3]
	.loc	1 37 18                         ; softmax_aot.py:37:18
	v_fma_f32 v65, -v62, v63, 1.0
	v_fmac_f32_e32 v63, v65, v63
	v_mul_f32_e32 v65, v64, v63
	v_fma_f32 v92, -v62, v65, v64
	v_fmac_f32_e32 v65, v92, v63
	v_fma_f32 v62, -v62, v65, v64
	v_div_fmas_f32 v62, v62, v63, v65
	v_div_fixup_f32 v62, v62, v69, v97
	.loc	1 39 30                         ; softmax_aot.py:39:30
	global_store_dword v[60:61], v62, off
	s_or_b64 exec, exec, s[0:1]
	s_and_saveexec_b64 s[0:1], s[66:67]
	s_cbranch_execz .LBB0_80
.LBB0_112:
	.loc	1 37 18                         ; softmax_aot.py:37:18
	s_waitcnt lgkmcnt(0)
	v_div_scale_f32 v60, s[4:5], v69, v69, v95
	v_rcp_f32_e32 v61, v60
	v_div_scale_f32 v62, vcc, v95, v69, v95
	.loc	1 38 35                         ; softmax_aot.py:38:35
	v_lshl_add_u64 v[58:59], v[58:59], 2, s[2:3]
	.loc	1 37 18                         ; softmax_aot.py:37:18
	v_fma_f32 v63, -v60, v61, 1.0
	v_fmac_f32_e32 v61, v63, v61
	v_mul_f32_e32 v63, v62, v61
	v_fma_f32 v64, -v60, v63, v62
	v_fmac_f32_e32 v63, v64, v61
	v_fma_f32 v60, -v60, v63, v62
	v_div_fmas_f32 v60, v60, v61, v63
	v_div_fixup_f32 v60, v60, v69, v95
	.loc	1 39 30                         ; softmax_aot.py:39:30
	global_store_dword v[58:59], v60, off
	s_or_b64 exec, exec, s[0:1]
	s_and_saveexec_b64 s[0:1], s[64:65]
	s_cbranch_execz .LBB0_81
.LBB0_113:
	.loc	1 37 18                         ; softmax_aot.py:37:18
	s_waitcnt lgkmcnt(0)
	v_div_scale_f32 v58, s[4:5], v69, v69, v93
	v_rcp_f32_e32 v59, v58
	v_div_scale_f32 v60, vcc, v93, v69, v93
	.loc	1 38 35                         ; softmax_aot.py:38:35
	v_lshl_add_u64 v[56:57], v[56:57], 2, s[2:3]
	.loc	1 37 18                         ; softmax_aot.py:37:18
	v_fma_f32 v61, -v58, v59, 1.0
	v_fmac_f32_e32 v59, v61, v59
	v_mul_f32_e32 v61, v60, v59
	v_fma_f32 v62, -v58, v61, v60
	v_fmac_f32_e32 v61, v62, v59
	v_fma_f32 v58, -v58, v61, v60
	v_div_fmas_f32 v58, v58, v59, v61
	v_div_fixup_f32 v58, v58, v69, v93
	.loc	1 39 30                         ; softmax_aot.py:39:30
	global_store_dword v[56:57], v58, off
	s_or_b64 exec, exec, s[0:1]
	s_and_saveexec_b64 s[0:1], s[62:63]
	s_cbranch_execz .LBB0_82
.LBB0_114:
	.loc	1 37 18                         ; softmax_aot.py:37:18
	s_waitcnt lgkmcnt(0)
	v_div_scale_f32 v56, s[4:5], v69, v69, v91
	v_rcp_f32_e32 v57, v56
	v_div_scale_f32 v58, vcc, v91, v69, v91
	.loc	1 38 35                         ; softmax_aot.py:38:35
	v_lshl_add_u64 v[54:55], v[54:55], 2, s[2:3]
	.loc	1 37 18                         ; softmax_aot.py:37:18
	v_fma_f32 v59, -v56, v57, 1.0
	v_fmac_f32_e32 v57, v59, v57
	v_mul_f32_e32 v59, v58, v57
	v_fma_f32 v60, -v56, v59, v58
	v_fmac_f32_e32 v59, v60, v57
	v_fma_f32 v56, -v56, v59, v58
	v_div_fmas_f32 v56, v56, v57, v59
	v_div_fixup_f32 v56, v56, v69, v91
	.loc	1 39 30                         ; softmax_aot.py:39:30
	global_store_dword v[54:55], v56, off
	s_or_b64 exec, exec, s[0:1]
	s_and_saveexec_b64 s[0:1], s[60:61]
	s_cbranch_execz .LBB0_83
.LBB0_115:
	.loc	1 37 18                         ; softmax_aot.py:37:18
	s_waitcnt lgkmcnt(0)
	v_div_scale_f32 v54, s[4:5], v69, v69, v90
	v_rcp_f32_e32 v55, v54
	v_div_scale_f32 v56, vcc, v90, v69, v90
	.loc	1 38 35                         ; softmax_aot.py:38:35
	v_lshl_add_u64 v[52:53], v[52:53], 2, s[2:3]
	.loc	1 37 18                         ; softmax_aot.py:37:18
	v_fma_f32 v57, -v54, v55, 1.0
	v_fmac_f32_e32 v55, v57, v55
	v_mul_f32_e32 v57, v56, v55
	v_fma_f32 v58, -v54, v57, v56
	v_fmac_f32_e32 v57, v58, v55
	v_fma_f32 v54, -v54, v57, v56
	v_div_fmas_f32 v54, v54, v55, v57
	v_div_fixup_f32 v54, v54, v69, v90
	.loc	1 39 30                         ; softmax_aot.py:39:30
	global_store_dword v[52:53], v54, off
	s_or_b64 exec, exec, s[0:1]
	s_and_saveexec_b64 s[0:1], s[58:59]
	s_cbranch_execz .LBB0_84
.LBB0_116:
	.loc	1 37 18                         ; softmax_aot.py:37:18
	s_waitcnt lgkmcnt(0)
	v_div_scale_f32 v52, s[4:5], v69, v69, v89
	v_rcp_f32_e32 v53, v52
	v_div_scale_f32 v54, vcc, v89, v69, v89
	.loc	1 38 35                         ; softmax_aot.py:38:35
	v_lshl_add_u64 v[50:51], v[50:51], 2, s[2:3]
	.loc	1 37 18                         ; softmax_aot.py:37:18
	v_fma_f32 v55, -v52, v53, 1.0
	v_fmac_f32_e32 v53, v55, v53
	v_mul_f32_e32 v55, v54, v53
	v_fma_f32 v56, -v52, v55, v54
	v_fmac_f32_e32 v55, v56, v53
	v_fma_f32 v52, -v52, v55, v54
	v_div_fmas_f32 v52, v52, v53, v55
	v_div_fixup_f32 v52, v52, v69, v89
	.loc	1 39 30                         ; softmax_aot.py:39:30
	global_store_dword v[50:51], v52, off
	s_or_b64 exec, exec, s[0:1]
	s_and_saveexec_b64 s[0:1], s[56:57]
	s_cbranch_execz .LBB0_85
.LBB0_117:
	.loc	1 37 18                         ; softmax_aot.py:37:18
	s_waitcnt lgkmcnt(0)
	v_div_scale_f32 v50, s[4:5], v69, v69, v88
	v_rcp_f32_e32 v51, v50
	v_div_scale_f32 v52, vcc, v88, v69, v88
	.loc	1 38 35                         ; softmax_aot.py:38:35
	v_lshl_add_u64 v[48:49], v[48:49], 2, s[2:3]
	.loc	1 37 18                         ; softmax_aot.py:37:18
	v_fma_f32 v53, -v50, v51, 1.0
	v_fmac_f32_e32 v51, v53, v51
	v_mul_f32_e32 v53, v52, v51
	v_fma_f32 v54, -v50, v53, v52
	v_fmac_f32_e32 v53, v54, v51
	v_fma_f32 v50, -v50, v53, v52
	v_div_fmas_f32 v50, v50, v51, v53
	v_div_fixup_f32 v50, v50, v69, v88
	.loc	1 39 30                         ; softmax_aot.py:39:30
	global_store_dword v[48:49], v50, off
	s_or_b64 exec, exec, s[0:1]
	s_and_saveexec_b64 s[0:1], s[54:55]
	s_cbranch_execz .LBB0_86
.LBB0_118:
	.loc	1 37 18                         ; softmax_aot.py:37:18
	s_waitcnt lgkmcnt(0)
	v_div_scale_f32 v48, s[4:5], v69, v69, v87
	v_rcp_f32_e32 v49, v48
	v_div_scale_f32 v50, vcc, v87, v69, v87
	.loc	1 38 35                         ; softmax_aot.py:38:35
	v_lshl_add_u64 v[46:47], v[46:47], 2, s[2:3]
	.loc	1 37 18                         ; softmax_aot.py:37:18
	v_fma_f32 v51, -v48, v49, 1.0
	v_fmac_f32_e32 v49, v51, v49
	v_mul_f32_e32 v51, v50, v49
	v_fma_f32 v52, -v48, v51, v50
	v_fmac_f32_e32 v51, v52, v49
	v_fma_f32 v48, -v48, v51, v50
	v_div_fmas_f32 v48, v48, v49, v51
	v_div_fixup_f32 v48, v48, v69, v87
	.loc	1 39 30                         ; softmax_aot.py:39:30
	global_store_dword v[46:47], v48, off
	s_or_b64 exec, exec, s[0:1]
	s_and_saveexec_b64 s[0:1], s[52:53]
	s_cbranch_execz .LBB0_87
.LBB0_119:
	.loc	1 37 18                         ; softmax_aot.py:37:18
	s_waitcnt lgkmcnt(0)
	v_div_scale_f32 v46, s[4:5], v69, v69, v86
	v_rcp_f32_e32 v47, v46
	v_div_scale_f32 v48, vcc, v86, v69, v86
	.loc	1 38 35                         ; softmax_aot.py:38:35
	v_lshl_add_u64 v[44:45], v[44:45], 2, s[2:3]
	.loc	1 37 18                         ; softmax_aot.py:37:18
	v_fma_f32 v49, -v46, v47, 1.0
	v_fmac_f32_e32 v47, v49, v47
	v_mul_f32_e32 v49, v48, v47
	v_fma_f32 v50, -v46, v49, v48
	v_fmac_f32_e32 v49, v50, v47
	v_fma_f32 v46, -v46, v49, v48
	v_div_fmas_f32 v46, v46, v47, v49
	v_div_fixup_f32 v46, v46, v69, v86
	.loc	1 39 30                         ; softmax_aot.py:39:30
	global_store_dword v[44:45], v46, off
	s_or_b64 exec, exec, s[0:1]
	s_and_saveexec_b64 s[0:1], s[50:51]
	s_cbranch_execz .LBB0_88
.LBB0_120:
	.loc	1 37 18                         ; softmax_aot.py:37:18
	s_waitcnt lgkmcnt(0)
	v_div_scale_f32 v44, s[4:5], v69, v69, v85
	v_rcp_f32_e32 v45, v44
	v_div_scale_f32 v46, vcc, v85, v69, v85
	.loc	1 38 35                         ; softmax_aot.py:38:35
	v_lshl_add_u64 v[42:43], v[42:43], 2, s[2:3]
	.loc	1 37 18                         ; softmax_aot.py:37:18
	v_fma_f32 v47, -v44, v45, 1.0
	v_fmac_f32_e32 v45, v47, v45
	v_mul_f32_e32 v47, v46, v45
	v_fma_f32 v48, -v44, v47, v46
	v_fmac_f32_e32 v47, v48, v45
	v_fma_f32 v44, -v44, v47, v46
	v_div_fmas_f32 v44, v44, v45, v47
	v_div_fixup_f32 v44, v44, v69, v85
	.loc	1 39 30                         ; softmax_aot.py:39:30
	global_store_dword v[42:43], v44, off
	s_or_b64 exec, exec, s[0:1]
	s_and_saveexec_b64 s[0:1], s[48:49]
	s_cbranch_execz .LBB0_89
.LBB0_121:
	.loc	1 37 18                         ; softmax_aot.py:37:18
	s_waitcnt lgkmcnt(0)
	v_div_scale_f32 v42, s[4:5], v69, v69, v84
	v_rcp_f32_e32 v43, v42
	v_div_scale_f32 v44, vcc, v84, v69, v84
	.loc	1 38 35                         ; softmax_aot.py:38:35
	v_lshl_add_u64 v[40:41], v[40:41], 2, s[2:3]
	.loc	1 37 18                         ; softmax_aot.py:37:18
	v_fma_f32 v45, -v42, v43, 1.0
	v_fmac_f32_e32 v43, v45, v43
	v_mul_f32_e32 v45, v44, v43
	v_fma_f32 v46, -v42, v45, v44
	v_fmac_f32_e32 v45, v46, v43
	v_fma_f32 v42, -v42, v45, v44
	v_div_fmas_f32 v42, v42, v43, v45
	v_div_fixup_f32 v42, v42, v69, v84
	.loc	1 39 30                         ; softmax_aot.py:39:30
	global_store_dword v[40:41], v42, off
	s_or_b64 exec, exec, s[0:1]
	s_and_saveexec_b64 s[0:1], s[46:47]
	s_cbranch_execz .LBB0_90
.LBB0_122:
	.loc	1 37 18                         ; softmax_aot.py:37:18
	s_waitcnt lgkmcnt(0)
	v_div_scale_f32 v40, s[4:5], v69, v69, v83
	v_rcp_f32_e32 v41, v40
	v_div_scale_f32 v42, vcc, v83, v69, v83
	.loc	1 38 35                         ; softmax_aot.py:38:35
	v_lshl_add_u64 v[38:39], v[38:39], 2, s[2:3]
	.loc	1 37 18                         ; softmax_aot.py:37:18
	v_fma_f32 v43, -v40, v41, 1.0
	v_fmac_f32_e32 v41, v43, v41
	v_mul_f32_e32 v43, v42, v41
	v_fma_f32 v44, -v40, v43, v42
	v_fmac_f32_e32 v43, v44, v41
	v_fma_f32 v40, -v40, v43, v42
	v_div_fmas_f32 v40, v40, v41, v43
	v_div_fixup_f32 v40, v40, v69, v83
	.loc	1 39 30                         ; softmax_aot.py:39:30
	global_store_dword v[38:39], v40, off
	s_or_b64 exec, exec, s[0:1]
	s_and_saveexec_b64 s[0:1], s[44:45]
	s_cbranch_execz .LBB0_91
.LBB0_123:
	.loc	1 37 18                         ; softmax_aot.py:37:18
	s_waitcnt lgkmcnt(0)
	v_div_scale_f32 v38, s[4:5], v69, v69, v82
	v_rcp_f32_e32 v39, v38
	v_div_scale_f32 v40, vcc, v82, v69, v82
	.loc	1 38 35                         ; softmax_aot.py:38:35
	v_lshl_add_u64 v[36:37], v[36:37], 2, s[2:3]
	.loc	1 37 18                         ; softmax_aot.py:37:18
	v_fma_f32 v41, -v38, v39, 1.0
	v_fmac_f32_e32 v39, v41, v39
	v_mul_f32_e32 v41, v40, v39
	v_fma_f32 v42, -v38, v41, v40
	v_fmac_f32_e32 v41, v42, v39
	v_fma_f32 v38, -v38, v41, v40
	v_div_fmas_f32 v38, v38, v39, v41
	v_div_fixup_f32 v38, v38, v69, v82
	.loc	1 39 30                         ; softmax_aot.py:39:30
	global_store_dword v[36:37], v38, off
	s_or_b64 exec, exec, s[0:1]
	s_and_saveexec_b64 s[0:1], s[42:43]
	s_cbranch_execz .LBB0_92
.LBB0_124:
	.loc	1 37 18                         ; softmax_aot.py:37:18
	s_waitcnt lgkmcnt(0)
	v_div_scale_f32 v36, s[4:5], v69, v69, v81
	v_rcp_f32_e32 v37, v36
	v_div_scale_f32 v38, vcc, v81, v69, v81
	.loc	1 38 35                         ; softmax_aot.py:38:35
	v_lshl_add_u64 v[34:35], v[34:35], 2, s[2:3]
	.loc	1 37 18                         ; softmax_aot.py:37:18
	v_fma_f32 v39, -v36, v37, 1.0
	v_fmac_f32_e32 v37, v39, v37
	v_mul_f32_e32 v39, v38, v37
	v_fma_f32 v40, -v36, v39, v38
	v_fmac_f32_e32 v39, v40, v37
	v_fma_f32 v36, -v36, v39, v38
	v_div_fmas_f32 v36, v36, v37, v39
	v_div_fixup_f32 v36, v36, v69, v81
	.loc	1 39 30                         ; softmax_aot.py:39:30
	global_store_dword v[34:35], v36, off
	s_or_b64 exec, exec, s[0:1]
	s_and_saveexec_b64 s[0:1], s[40:41]
	s_cbranch_execz .LBB0_93
.LBB0_125:
	.loc	1 37 18                         ; softmax_aot.py:37:18
	s_waitcnt lgkmcnt(0)
	v_div_scale_f32 v34, s[4:5], v69, v69, v80
	v_rcp_f32_e32 v35, v34
	v_div_scale_f32 v36, vcc, v80, v69, v80
	.loc	1 38 35                         ; softmax_aot.py:38:35
	v_lshl_add_u64 v[32:33], v[32:33], 2, s[2:3]
	.loc	1 37 18                         ; softmax_aot.py:37:18
	v_fma_f32 v37, -v34, v35, 1.0
	v_fmac_f32_e32 v35, v37, v35
	v_mul_f32_e32 v37, v36, v35
	v_fma_f32 v38, -v34, v37, v36
	v_fmac_f32_e32 v37, v38, v35
	v_fma_f32 v34, -v34, v37, v36
	v_div_fmas_f32 v34, v34, v35, v37
	v_div_fixup_f32 v34, v34, v69, v80
	.loc	1 39 30                         ; softmax_aot.py:39:30
	global_store_dword v[32:33], v34, off
	s_or_b64 exec, exec, s[0:1]
	s_and_saveexec_b64 s[0:1], s[38:39]
	s_cbranch_execz .LBB0_94
.LBB0_126:
	.loc	1 37 18                         ; softmax_aot.py:37:18
	s_waitcnt lgkmcnt(0)
	v_div_scale_f32 v32, s[4:5], v69, v69, v79
	v_rcp_f32_e32 v33, v32
	v_div_scale_f32 v34, vcc, v79, v69, v79
	.loc	1 38 35                         ; softmax_aot.py:38:35
	v_lshl_add_u64 v[30:31], v[30:31], 2, s[2:3]
	.loc	1 37 18                         ; softmax_aot.py:37:18
	v_fma_f32 v35, -v32, v33, 1.0
	v_fmac_f32_e32 v33, v35, v33
	v_mul_f32_e32 v35, v34, v33
	v_fma_f32 v36, -v32, v35, v34
	v_fmac_f32_e32 v35, v36, v33
	v_fma_f32 v32, -v32, v35, v34
	v_div_fmas_f32 v32, v32, v33, v35
	v_div_fixup_f32 v32, v32, v69, v79
	.loc	1 39 30                         ; softmax_aot.py:39:30
	global_store_dword v[30:31], v32, off
	s_or_b64 exec, exec, s[0:1]
	s_and_saveexec_b64 s[0:1], s[36:37]
	s_cbranch_execz .LBB0_95
.LBB0_127:
	.loc	1 37 18                         ; softmax_aot.py:37:18
	s_waitcnt lgkmcnt(0)
	v_div_scale_f32 v30, s[4:5], v69, v69, v78
	v_rcp_f32_e32 v31, v30
	v_div_scale_f32 v32, vcc, v78, v69, v78
	.loc	1 38 35                         ; softmax_aot.py:38:35
	v_lshl_add_u64 v[28:29], v[28:29], 2, s[2:3]
	.loc	1 37 18                         ; softmax_aot.py:37:18
	v_fma_f32 v33, -v30, v31, 1.0
	v_fmac_f32_e32 v31, v33, v31
	v_mul_f32_e32 v33, v32, v31
	v_fma_f32 v34, -v30, v33, v32
	v_fmac_f32_e32 v33, v34, v31
	v_fma_f32 v30, -v30, v33, v32
	v_div_fmas_f32 v30, v30, v31, v33
	v_div_fixup_f32 v30, v30, v69, v78
	.loc	1 39 30                         ; softmax_aot.py:39:30
	global_store_dword v[28:29], v30, off
	s_or_b64 exec, exec, s[0:1]
	s_and_saveexec_b64 s[0:1], s[34:35]
	s_cbranch_execz .LBB0_96
.LBB0_128:
	.loc	1 37 18                         ; softmax_aot.py:37:18
	s_waitcnt lgkmcnt(0)
	v_div_scale_f32 v28, s[4:5], v69, v69, v77
	v_rcp_f32_e32 v29, v28
	v_div_scale_f32 v30, vcc, v77, v69, v77
	.loc	1 38 35                         ; softmax_aot.py:38:35
	v_lshl_add_u64 v[26:27], v[26:27], 2, s[2:3]
	.loc	1 37 18                         ; softmax_aot.py:37:18
	v_fma_f32 v31, -v28, v29, 1.0
	v_fmac_f32_e32 v29, v31, v29
	v_mul_f32_e32 v31, v30, v29
	v_fma_f32 v32, -v28, v31, v30
	v_fmac_f32_e32 v31, v32, v29
	v_fma_f32 v28, -v28, v31, v30
	v_div_fmas_f32 v28, v28, v29, v31
	v_div_fixup_f32 v28, v28, v69, v77
	.loc	1 39 30                         ; softmax_aot.py:39:30
	global_store_dword v[26:27], v28, off
	s_or_b64 exec, exec, s[0:1]
	s_and_saveexec_b64 s[0:1], s[30:31]
	s_cbranch_execz .LBB0_97
.LBB0_129:
	.loc	1 37 18                         ; softmax_aot.py:37:18
	s_waitcnt lgkmcnt(0)
	v_div_scale_f32 v26, s[4:5], v69, v69, v76
	v_rcp_f32_e32 v27, v26
	v_div_scale_f32 v28, vcc, v76, v69, v76
	.loc	1 38 35                         ; softmax_aot.py:38:35
	v_lshl_add_u64 v[24:25], v[24:25], 2, s[2:3]
	.loc	1 37 18                         ; softmax_aot.py:37:18
	v_fma_f32 v29, -v26, v27, 1.0
	v_fmac_f32_e32 v27, v29, v27
	v_mul_f32_e32 v29, v28, v27
	v_fma_f32 v30, -v26, v29, v28
	v_fmac_f32_e32 v29, v30, v27
	v_fma_f32 v26, -v26, v29, v28
	v_div_fmas_f32 v26, v26, v27, v29
	v_div_fixup_f32 v26, v26, v69, v76
	.loc	1 39 30                         ; softmax_aot.py:39:30
	global_store_dword v[24:25], v26, off
	s_or_b64 exec, exec, s[0:1]
	s_and_saveexec_b64 s[0:1], s[28:29]
	s_cbranch_execz .LBB0_98
.LBB0_130:
	.loc	1 37 18                         ; softmax_aot.py:37:18
	s_waitcnt lgkmcnt(0)
	v_div_scale_f32 v24, s[4:5], v69, v69, v75
	v_rcp_f32_e32 v25, v24
	v_div_scale_f32 v26, vcc, v75, v69, v75
	.loc	1 38 35                         ; softmax_aot.py:38:35
	v_lshl_add_u64 v[22:23], v[22:23], 2, s[2:3]
	.loc	1 37 18                         ; softmax_aot.py:37:18
	v_fma_f32 v27, -v24, v25, 1.0
	v_fmac_f32_e32 v25, v27, v25
	v_mul_f32_e32 v27, v26, v25
	v_fma_f32 v28, -v24, v27, v26
	v_fmac_f32_e32 v27, v28, v25
	v_fma_f32 v24, -v24, v27, v26
	v_div_fmas_f32 v24, v24, v25, v27
	v_div_fixup_f32 v24, v24, v69, v75
	.loc	1 39 30                         ; softmax_aot.py:39:30
	global_store_dword v[22:23], v24, off
	s_or_b64 exec, exec, s[0:1]
	s_and_saveexec_b64 s[0:1], s[26:27]
	s_cbranch_execz .LBB0_99
.LBB0_131:
	.loc	1 37 18                         ; softmax_aot.py:37:18
	s_waitcnt lgkmcnt(0)
	v_div_scale_f32 v22, s[4:5], v69, v69, v74
	v_rcp_f32_e32 v23, v22
	v_div_scale_f32 v24, vcc, v74, v69, v74
	.loc	1 38 35                         ; softmax_aot.py:38:35
	v_lshl_add_u64 v[20:21], v[20:21], 2, s[2:3]
	.loc	1 37 18                         ; softmax_aot.py:37:18
	v_fma_f32 v25, -v22, v23, 1.0
	v_fmac_f32_e32 v23, v25, v23
	v_mul_f32_e32 v25, v24, v23
	v_fma_f32 v26, -v22, v25, v24
	v_fmac_f32_e32 v25, v26, v23
	v_fma_f32 v22, -v22, v25, v24
	v_div_fmas_f32 v22, v22, v23, v25
	v_div_fixup_f32 v22, v22, v69, v74
	.loc	1 39 30                         ; softmax_aot.py:39:30
	global_store_dword v[20:21], v22, off
	s_or_b64 exec, exec, s[0:1]
	s_and_saveexec_b64 s[0:1], s[24:25]
	s_cbranch_execz .LBB0_100
.LBB0_132:
	.loc	1 37 18                         ; softmax_aot.py:37:18
	s_waitcnt lgkmcnt(0)
	v_div_scale_f32 v20, s[4:5], v69, v69, v73
	v_rcp_f32_e32 v21, v20
	v_div_scale_f32 v22, vcc, v73, v69, v73
	.loc	1 38 35                         ; softmax_aot.py:38:35
	v_lshl_add_u64 v[18:19], v[18:19], 2, s[2:3]
	.loc	1 37 18                         ; softmax_aot.py:37:18
	v_fma_f32 v23, -v20, v21, 1.0
	v_fmac_f32_e32 v21, v23, v21
	v_mul_f32_e32 v23, v22, v21
	v_fma_f32 v24, -v20, v23, v22
	v_fmac_f32_e32 v23, v24, v21
	v_fma_f32 v20, -v20, v23, v22
	v_div_fmas_f32 v20, v20, v21, v23
	v_div_fixup_f32 v20, v20, v69, v73
	.loc	1 39 30                         ; softmax_aot.py:39:30
	global_store_dword v[18:19], v20, off
	s_or_b64 exec, exec, s[0:1]
	s_and_saveexec_b64 s[0:1], s[22:23]
	s_cbranch_execz .LBB0_101
.LBB0_133:
	.loc	1 37 18                         ; softmax_aot.py:37:18
	s_waitcnt lgkmcnt(0)
	v_div_scale_f32 v18, s[4:5], v69, v69, v72
	v_rcp_f32_e32 v19, v18
	v_div_scale_f32 v20, vcc, v72, v69, v72
	.loc	1 38 35                         ; softmax_aot.py:38:35
	v_lshl_add_u64 v[16:17], v[16:17], 2, s[2:3]
	.loc	1 37 18                         ; softmax_aot.py:37:18
	v_fma_f32 v21, -v18, v19, 1.0
	v_fmac_f32_e32 v19, v21, v19
	v_mul_f32_e32 v21, v20, v19
	v_fma_f32 v22, -v18, v21, v20
	v_fmac_f32_e32 v21, v22, v19
	v_fma_f32 v18, -v18, v21, v20
	v_div_fmas_f32 v18, v18, v19, v21
	v_div_fixup_f32 v18, v18, v69, v72
	.loc	1 39 30                         ; softmax_aot.py:39:30
	global_store_dword v[16:17], v18, off
	s_or_b64 exec, exec, s[0:1]
	s_and_saveexec_b64 s[0:1], s[20:21]
	s_cbranch_execz .LBB0_102
.LBB0_134:
	.loc	1 37 18                         ; softmax_aot.py:37:18
	s_waitcnt lgkmcnt(0)
	v_div_scale_f32 v16, s[4:5], v69, v69, v71
	v_rcp_f32_e32 v17, v16
	v_div_scale_f32 v18, vcc, v71, v69, v71
	.loc	1 38 35                         ; softmax_aot.py:38:35
	v_lshl_add_u64 v[14:15], v[14:15], 2, s[2:3]
	.loc	1 37 18                         ; softmax_aot.py:37:18
	v_fma_f32 v19, -v16, v17, 1.0
	v_fmac_f32_e32 v17, v19, v17
	v_mul_f32_e32 v19, v18, v17
	v_fma_f32 v20, -v16, v19, v18
	v_fmac_f32_e32 v19, v20, v17
	v_fma_f32 v16, -v16, v19, v18
	v_div_fmas_f32 v16, v16, v17, v19
	v_div_fixup_f32 v16, v16, v69, v71
	.loc	1 39 30                         ; softmax_aot.py:39:30
	global_store_dword v[14:15], v16, off
	s_or_b64 exec, exec, s[0:1]
	s_and_saveexec_b64 s[0:1], s[18:19]
	s_cbranch_execz .LBB0_103
.LBB0_135:
	.loc	1 37 18                         ; softmax_aot.py:37:18
	s_waitcnt lgkmcnt(0)
	v_div_scale_f32 v14, s[4:5], v69, v69, v70
	v_rcp_f32_e32 v15, v14
	v_div_scale_f32 v16, vcc, v70, v69, v70
	.loc	1 38 35                         ; softmax_aot.py:38:35
	v_lshl_add_u64 v[12:13], v[12:13], 2, s[2:3]
	.loc	1 37 18                         ; softmax_aot.py:37:18
	v_fma_f32 v17, -v14, v15, 1.0
	v_fmac_f32_e32 v15, v17, v15
	v_mul_f32_e32 v17, v16, v15
	v_fma_f32 v18, -v14, v17, v16
	v_fmac_f32_e32 v17, v18, v15
	v_fma_f32 v14, -v14, v17, v16
	v_div_fmas_f32 v14, v14, v15, v17
	v_div_fixup_f32 v14, v14, v69, v70
	.loc	1 39 30                         ; softmax_aot.py:39:30
	global_store_dword v[12:13], v14, off
	s_or_b64 exec, exec, s[0:1]
	s_and_saveexec_b64 s[0:1], s[16:17]
	s_cbranch_execz .LBB0_104
.LBB0_136:
	.loc	1 37 18                         ; softmax_aot.py:37:18
	s_waitcnt lgkmcnt(0)
	v_div_scale_f32 v12, s[4:5], v69, v69, v68
	v_rcp_f32_e32 v13, v12
	v_div_scale_f32 v14, vcc, v68, v69, v68
	.loc	1 38 35                         ; softmax_aot.py:38:35
	v_lshl_add_u64 v[10:11], v[10:11], 2, s[2:3]
	.loc	1 37 18                         ; softmax_aot.py:37:18
	v_fma_f32 v15, -v12, v13, 1.0
	v_fmac_f32_e32 v13, v15, v13
	v_mul_f32_e32 v15, v14, v13
	v_fma_f32 v16, -v12, v15, v14
	v_fmac_f32_e32 v15, v16, v13
	v_fma_f32 v12, -v12, v15, v14
	v_div_fmas_f32 v12, v12, v13, v15
	v_div_fixup_f32 v12, v12, v69, v68
	.loc	1 39 30                         ; softmax_aot.py:39:30
	global_store_dword v[10:11], v12, off
	s_or_b64 exec, exec, s[0:1]
	s_and_saveexec_b64 s[0:1], s[14:15]
	s_cbranch_execz .LBB0_105
.LBB0_137:
	.loc	1 37 18                         ; softmax_aot.py:37:18
	s_waitcnt lgkmcnt(0)
	v_div_scale_f32 v10, s[4:5], v69, v69, v67
	v_rcp_f32_e32 v11, v10
	v_div_scale_f32 v12, vcc, v67, v69, v67
	.loc	1 38 35                         ; softmax_aot.py:38:35
	v_lshl_add_u64 v[8:9], v[8:9], 2, s[2:3]
	.loc	1 37 18                         ; softmax_aot.py:37:18
	v_fma_f32 v13, -v10, v11, 1.0
	v_fmac_f32_e32 v11, v13, v11
	v_mul_f32_e32 v13, v12, v11
	v_fma_f32 v14, -v10, v13, v12
	v_fmac_f32_e32 v13, v14, v11
	v_fma_f32 v10, -v10, v13, v12
	v_div_fmas_f32 v10, v10, v11, v13
	v_div_fixup_f32 v10, v10, v69, v67
	.loc	1 39 30                         ; softmax_aot.py:39:30
	global_store_dword v[8:9], v10, off
	s_or_b64 exec, exec, s[0:1]
	s_and_saveexec_b64 s[0:1], s[12:13]
	s_cbranch_execz .LBB0_106
.LBB0_138:
	.loc	1 37 18                         ; softmax_aot.py:37:18
	s_waitcnt lgkmcnt(0)
	v_div_scale_f32 v8, s[4:5], v69, v69, v66
	v_rcp_f32_e32 v9, v8
	v_div_scale_f32 v10, vcc, v66, v69, v66
	.loc	1 38 35                         ; softmax_aot.py:38:35
	v_lshl_add_u64 v[6:7], v[6:7], 2, s[2:3]
	.loc	1 37 18                         ; softmax_aot.py:37:18
	v_fma_f32 v11, -v8, v9, 1.0
	v_fmac_f32_e32 v9, v11, v9
	v_mul_f32_e32 v11, v10, v9
	v_fma_f32 v12, -v8, v11, v10
	v_fmac_f32_e32 v11, v12, v9
	v_fma_f32 v8, -v8, v11, v10
	v_div_fmas_f32 v8, v8, v9, v11
	v_div_fixup_f32 v8, v8, v69, v66
	.loc	1 39 30                         ; softmax_aot.py:39:30
	global_store_dword v[6:7], v8, off
	s_or_b64 exec, exec, s[0:1]
	s_and_saveexec_b64 s[0:1], s[10:11]
	s_cbranch_execz .LBB0_107
.LBB0_139:
	.loc	1 37 18                         ; softmax_aot.py:37:18
	s_waitcnt lgkmcnt(0)
	v_div_scale_f32 v6, s[4:5], v69, v69, v1
	v_rcp_f32_e32 v7, v6
	v_div_scale_f32 v8, vcc, v1, v69, v1
	.loc	1 38 35                         ; softmax_aot.py:38:35
	v_lshl_add_u64 v[4:5], v[4:5], 2, s[2:3]
	.loc	1 37 18                         ; softmax_aot.py:37:18
	v_fma_f32 v9, -v6, v7, 1.0
	v_fmac_f32_e32 v7, v9, v7
	v_mul_f32_e32 v9, v8, v7
	v_fma_f32 v10, -v6, v9, v8
	v_fmac_f32_e32 v9, v10, v7
	v_fma_f32 v6, -v6, v9, v8
	v_div_fmas_f32 v6, v6, v7, v9
	v_div_fixup_f32 v1, v6, v69, v1
	.loc	1 39 30                         ; softmax_aot.py:39:30
	global_store_dword v[4:5], v1, off
	s_or_b64 exec, exec, s[0:1]
	s_and_saveexec_b64 s[0:1], s[8:9]
	s_cbranch_execz .LBB0_108
.LBB0_140:
	.loc	1 37 18                         ; softmax_aot.py:37:18
	s_waitcnt lgkmcnt(0)
	v_div_scale_f32 v1, s[0:1], v69, v69, v0
	v_rcp_f32_e32 v4, v1
	v_div_scale_f32 v5, vcc, v0, v69, v0
	v_fma_f32 v6, -v1, v4, 1.0
	v_fmac_f32_e32 v4, v6, v4
	v_mul_f32_e32 v6, v5, v4
	v_fma_f32 v7, -v1, v6, v5
	v_fmac_f32_e32 v6, v7, v4
	v_fma_f32 v1, -v1, v6, v5
	v_div_fmas_f32 v1, v1, v4, v6
	v_div_fixup_f32 v4, v1, v69, v0
	.loc	1 38 35                         ; softmax_aot.py:38:35
	v_lshl_add_u64 v[0:1], v[2:3], 2, s[2:3]
	.loc	1 39 30                         ; softmax_aot.py:39:30
	global_store_dword v[0:1], v4, off
	.loc	1 28 4                          ; softmax_aot.py:28:4
	s_endpgm
.Ltmp21:
	.section	.rodata,"a",@progbits
	.p2align	6, 0x0
	.amdhsa_kernel softmax_kernel_non_inner
		.amdhsa_group_segment_fixed_size 0
		.amdhsa_private_segment_fixed_size 0
		.amdhsa_kernarg_size 48
		.amdhsa_user_sgpr_count 14
		.amdhsa_user_sgpr_dispatch_ptr 0
		.amdhsa_user_sgpr_queue_ptr 0
		.amdhsa_user_sgpr_kernarg_segment_ptr 1
		.amdhsa_user_sgpr_dispatch_id 0
		.amdhsa_user_sgpr_kernarg_preload_length 12
		.amdhsa_user_sgpr_kernarg_preload_offset 0
		.amdhsa_user_sgpr_private_segment_size 0
		.amdhsa_uses_dynamic_stack 0
		.amdhsa_enable_private_segment 0
		.amdhsa_system_sgpr_workgroup_id_x 1
		.amdhsa_system_sgpr_workgroup_id_y 1
		.amdhsa_system_sgpr_workgroup_id_z 0
		.amdhsa_system_sgpr_workgroup_info 0
		.amdhsa_system_vgpr_workitem_id 0
		.amdhsa_next_free_vgpr 117
		.amdhsa_next_free_sgpr 76
		.amdhsa_accum_offset 120
		.amdhsa_reserve_vcc 1
		.amdhsa_reserve_xnack_mask 1
		.amdhsa_float_round_mode_32 0
		.amdhsa_float_round_mode_16_64 0
		.amdhsa_float_denorm_mode_32 3
		.amdhsa_float_denorm_mode_16_64 3
		.amdhsa_dx10_clamp 1
		.amdhsa_ieee_mode 1
		.amdhsa_fp16_overflow 0
		.amdhsa_tg_split 0
		.amdhsa_exception_fp_ieee_invalid_op 0
		.amdhsa_exception_fp_denorm_src 0
		.amdhsa_exception_fp_ieee_div_zero 0
		.amdhsa_exception_fp_ieee_overflow 0
		.amdhsa_exception_fp_ieee_underflow 0
		.amdhsa_exception_fp_ieee_inexact 0
		.amdhsa_exception_int_div_zero 0
	.end_amdhsa_kernel
	.text
.Lfunc_end0:
	.size	softmax_kernel_non_inner, .Lfunc_end0-softmax_kernel_non_inner
	.cfi_endproc
                                        ; -- End function
	.set softmax_kernel_non_inner.num_vgpr, 117
	.set softmax_kernel_non_inner.num_agpr, 0
	.set softmax_kernel_non_inner.numbered_sgpr, 76
	.set softmax_kernel_non_inner.num_named_barrier, 0
	.set softmax_kernel_non_inner.private_seg_size, 0
	.set softmax_kernel_non_inner.uses_vcc, 1
	.set softmax_kernel_non_inner.uses_flat_scratch, 0
	.set softmax_kernel_non_inner.has_dyn_sized_stack, 0
	.set softmax_kernel_non_inner.has_recursion, 0
	.set softmax_kernel_non_inner.has_indirect_call, 0
	.section	.AMDGPU.csdata,"",@progbits
; Kernel info:
; codeLenInByte = 8632
; TotalNumSgprs: 82
; NumVgprs: 117
; NumAgprs: 0
; TotalNumVgprs: 117
; ScratchSize: 0
; MemoryBound: 0
; FloatMode: 240
; IeeeMode: 1
; LDSByteSize: 0 bytes/workgroup (compile time only)
; SGPRBlocks: 10
; VGPRBlocks: 14
; NumSGPRsForWavesPerEU: 82
; NumVGPRsForWavesPerEU: 117
; AccumOffset: 120
; Occupancy: 4
; WaveLimiterHint : 0
; COMPUTE_PGM_RSRC2:SCRATCH_EN: 0
; COMPUTE_PGM_RSRC2:USER_SGPR: 14
; COMPUTE_PGM_RSRC2:TRAP_HANDLER: 0
; COMPUTE_PGM_RSRC2:TGID_X_EN: 1
; COMPUTE_PGM_RSRC2:TGID_Y_EN: 1
; COMPUTE_PGM_RSRC2:TGID_Z_EN: 0
; COMPUTE_PGM_RSRC2:TIDIG_COMP_CNT: 0
; COMPUTE_PGM_RSRC3_GFX90A:ACCUM_OFFSET: 29
; COMPUTE_PGM_RSRC3_GFX90A:TG_SPLIT: 0
	.text
	.p2alignl 6, 3212836864
	.fill 256, 4, 3212836864
	.section	.AMDGPU.gpr_maximums,"",@progbits
	.set amdgpu.max_num_vgpr, 0
	.set amdgpu.max_num_agpr, 0
	.set amdgpu.max_num_sgpr, 0
	.set amdgpu.max_num_named_barrier, 0
	.text
	.section	.debug_abbrev,"",@progbits
	.byte	1                               ; Abbreviation Code
	.byte	17                              ; DW_TAG_compile_unit
	.byte	1                               ; DW_CHILDREN_yes
	.byte	37                              ; DW_AT_producer
	.byte	14                              ; DW_FORM_strp
	.byte	19                              ; DW_AT_language
	.byte	5                               ; DW_FORM_data2
	.byte	3                               ; DW_AT_name
	.byte	14                              ; DW_FORM_strp
	.byte	16                              ; DW_AT_stmt_list
	.byte	23                              ; DW_FORM_sec_offset
	.byte	27                              ; DW_AT_comp_dir
	.byte	14                              ; DW_FORM_strp
	.byte	17                              ; DW_AT_low_pc
	.byte	1                               ; DW_FORM_addr
	.byte	18                              ; DW_AT_high_pc
	.byte	6                               ; DW_FORM_data4
	.byte	0                               ; EOM(1)
	.byte	0                               ; EOM(2)
	.byte	2                               ; Abbreviation Code
	.byte	46                              ; DW_TAG_subprogram
	.byte	0                               ; DW_CHILDREN_no
	.byte	3                               ; DW_AT_name
	.byte	14                              ; DW_FORM_strp
	.byte	32                              ; DW_AT_inline
	.byte	11                              ; DW_FORM_data1
	.byte	0                               ; EOM(1)
	.byte	0                               ; EOM(2)
	.byte	3                               ; Abbreviation Code
	.byte	46                              ; DW_TAG_subprogram
	.byte	1                               ; DW_CHILDREN_yes
	.byte	17                              ; DW_AT_low_pc
	.byte	1                               ; DW_FORM_addr
	.byte	18                              ; DW_AT_high_pc
	.byte	6                               ; DW_FORM_data4
	.byte	49                              ; DW_AT_abstract_origin
	.byte	19                              ; DW_FORM_ref4
	.byte	0                               ; EOM(1)
	.byte	0                               ; EOM(2)
	.byte	4                               ; Abbreviation Code
	.byte	29                              ; DW_TAG_inlined_subroutine
	.byte	1                               ; DW_CHILDREN_yes
	.byte	49                              ; DW_AT_abstract_origin
	.byte	19                              ; DW_FORM_ref4
	.byte	85                              ; DW_AT_ranges
	.byte	23                              ; DW_FORM_sec_offset
	.byte	88                              ; DW_AT_call_file
	.byte	11                              ; DW_FORM_data1
	.byte	89                              ; DW_AT_call_line
	.byte	11                              ; DW_FORM_data1
	.byte	87                              ; DW_AT_call_column
	.byte	11                              ; DW_FORM_data1
	.byte	0                               ; EOM(1)
	.byte	0                               ; EOM(2)
	.byte	5                               ; Abbreviation Code
	.byte	29                              ; DW_TAG_inlined_subroutine
	.byte	0                               ; DW_CHILDREN_no
	.byte	49                              ; DW_AT_abstract_origin
	.byte	19                              ; DW_FORM_ref4
	.byte	85                              ; DW_AT_ranges
	.byte	23                              ; DW_FORM_sec_offset
	.byte	88                              ; DW_AT_call_file
	.byte	11                              ; DW_FORM_data1
	.byte	89                              ; DW_AT_call_line
	.byte	5                               ; DW_FORM_data2
	.byte	87                              ; DW_AT_call_column
	.byte	11                              ; DW_FORM_data1
	.byte	0                               ; EOM(1)
	.byte	0                               ; EOM(2)
	.byte	6                               ; Abbreviation Code
	.byte	29                              ; DW_TAG_inlined_subroutine
	.byte	0                               ; DW_CHILDREN_no
	.byte	49                              ; DW_AT_abstract_origin
	.byte	19                              ; DW_FORM_ref4
	.byte	85                              ; DW_AT_ranges
	.byte	23                              ; DW_FORM_sec_offset
	.byte	88                              ; DW_AT_call_file
	.byte	11                              ; DW_FORM_data1
	.byte	89                              ; DW_AT_call_line
	.byte	11                              ; DW_FORM_data1
	.byte	87                              ; DW_AT_call_column
	.byte	11                              ; DW_FORM_data1
	.byte	0                               ; EOM(1)
	.byte	0                               ; EOM(2)
	;; [unrolled: 1-line block ×3, first 2 shown]
	.section	.debug_info,"",@progbits
.Lcu_begin0:
	.long	.Ldebug_info_end0-.Ldebug_info_start0 ; Length of Unit
.Ldebug_info_start0:
	.short	4                               ; DWARF version number
	.long	.debug_abbrev                   ; Offset Into Abbrev. Section
	.byte	8                               ; Address Size (in bytes)
	.byte	1                               ; Abbrev [1] 0xb:0x6b DW_TAG_compile_unit
	.long	.Linfo_string0                  ; DW_AT_producer
	.short	2                               ; DW_AT_language
	.long	.Linfo_string1                  ; DW_AT_name
	.long	.Lline_table_start0             ; DW_AT_stmt_list
	.long	.Linfo_string2                  ; DW_AT_comp_dir
	.quad	.Lfunc_begin0                   ; DW_AT_low_pc
	.long	.Lfunc_end0-.Lfunc_begin0       ; DW_AT_high_pc
	.byte	2                               ; Abbrev [2] 0x2a:0x6 DW_TAG_subprogram
	.long	.Linfo_string3                  ; DW_AT_name
	.byte	1                               ; DW_AT_inline
	.byte	3                               ; Abbrev [3] 0x30:0x45 DW_TAG_subprogram
	.quad	.Lfunc_begin0                   ; DW_AT_low_pc
	.long	.Lfunc_end0-.Lfunc_begin0       ; DW_AT_high_pc
	.long	42                              ; DW_AT_abstract_origin
	.byte	4                               ; Abbrev [4] 0x41:0x1a DW_TAG_inlined_subroutine
	.long	42                              ; DW_AT_abstract_origin
	.long	.Ldebug_ranges0                 ; DW_AT_ranges
	.byte	1                               ; DW_AT_call_file
	.byte	36                              ; DW_AT_call_line
	.byte	22                              ; DW_AT_call_column
	.byte	5                               ; Abbrev [5] 0x4d:0xd DW_TAG_inlined_subroutine
	.long	42                              ; DW_AT_abstract_origin
	.long	.Ldebug_ranges1                 ; DW_AT_ranges
	.byte	2                               ; DW_AT_call_file
	.short	293                             ; DW_AT_call_line
	.byte	36                              ; DW_AT_call_column
	.byte	0                               ; End Of Children Mark
	.byte	4                               ; Abbrev [4] 0x5b:0x19 DW_TAG_inlined_subroutine
	.long	42                              ; DW_AT_abstract_origin
	.long	.Ldebug_ranges2                 ; DW_AT_ranges
	.byte	1                               ; DW_AT_call_file
	.byte	34                              ; DW_AT_call_line
	.byte	24                              ; DW_AT_call_column
	.byte	6                               ; Abbrev [6] 0x67:0xc DW_TAG_inlined_subroutine
	.long	42                              ; DW_AT_abstract_origin
	.long	.Ldebug_ranges3                 ; DW_AT_ranges
	.byte	2                               ; DW_AT_call_file
	.byte	191                             ; DW_AT_call_line
	.byte	40                              ; DW_AT_call_column
	.byte	0                               ; End Of Children Mark
	.byte	0                               ; End Of Children Mark
	;; [unrolled: 1-line block ×3, first 2 shown]
.Ldebug_info_end0:
	.section	.debug_ranges,"",@progbits
.Ldebug_ranges0:
	.quad	.Ltmp1-.Lfunc_begin0
	.quad	.Ltmp2-.Lfunc_begin0
	;; [unrolled: 1-line block ×8, first 2 shown]
	.quad	0
	.quad	0
.Ldebug_ranges1:
	.quad	.Ltmp14-.Lfunc_begin0
	.quad	.Ltmp15-.Lfunc_begin0
	;; [unrolled: 1-line block ×4, first 2 shown]
	.quad	0
	.quad	0
.Ldebug_ranges2:
	.quad	.Ltmp3-.Lfunc_begin0
	.quad	.Ltmp5-.Lfunc_begin0
	;; [unrolled: 1-line block ×4, first 2 shown]
	.quad	0
	.quad	0
.Ldebug_ranges3:
	.quad	.Ltmp3-.Lfunc_begin0
	.quad	.Ltmp4-.Lfunc_begin0
	;; [unrolled: 1-line block ×6, first 2 shown]
	.quad	0
	.quad	0
	.section	.debug_str,"MS",@progbits,1
.Linfo_string0:
	.asciz	"triton"                        ; string offset=0
.Linfo_string1:
	.asciz	"softmax_aot.py"                ; string offset=7
.Linfo_string2:
	.asciz	"/root/src/amdgpu-assembly/repos/FlagOpen__FlagGems/triton_aot_kernels" ; string offset=22
.Linfo_string3:
	.asciz	"softmax_kernel_non_inner"      ; string offset=92
	.section	".note.GNU-stack","",@progbits
	.amdgpu_metadata
---
amdhsa.kernels:
  - .agpr_count:     0
    .args:
      - .address_space:  global
        .offset:         0
        .size:           8
        .value_kind:     global_buffer
      - .address_space:  global
        .offset:         8
        .size:           8
        .value_kind:     global_buffer
      - .offset:         16
        .size:           4
        .value_kind:     by_value
      - .offset:         20
        .size:           4
        .value_kind:     by_value
      - .offset:         24
        .size:           4
        .value_kind:     by_value
      - .address_space:  global
        .offset:         32
        .size:           8
        .value_kind:     global_buffer
      - .address_space:  global
        .offset:         40
        .size:           8
        .value_kind:     global_buffer
    .group_segment_fixed_size: 0
    .kernarg_segment_align: 8
    .kernarg_segment_size: 48
    .max_flat_workgroup_size: 256
    .name:           softmax_kernel_non_inner
    .private_segment_fixed_size: 0
    .sgpr_count:     82
    .sgpr_spill_count: 0
    .symbol:         softmax_kernel_non_inner.kd
    .uniform_work_group_size: 1
    .uses_dynamic_stack: false
    .vgpr_count:     117
    .vgpr_spill_count: 0
    .wavefront_size: 64
amdhsa.target:   amdgcn-amd-amdhsa--gfx950
amdhsa.version:
  - 1
  - 2
...

	.end_amdgpu_metadata
	.section	.debug_line,"",@progbits
.Lline_table_start0:
